;; amdgpu-corpus repo=ROCm/rocFFT kind=compiled arch=gfx950 opt=O3
	.text
	.amdgcn_target "amdgcn-amd-amdhsa--gfx950"
	.amdhsa_code_object_version 6
	.protected	fft_rtc_fwd_len528_factors_4_4_3_11_wgs_48_tpt_48_halfLds_sp_op_CI_CI_sbrr_dirReg ; -- Begin function fft_rtc_fwd_len528_factors_4_4_3_11_wgs_48_tpt_48_halfLds_sp_op_CI_CI_sbrr_dirReg
	.globl	fft_rtc_fwd_len528_factors_4_4_3_11_wgs_48_tpt_48_halfLds_sp_op_CI_CI_sbrr_dirReg
	.p2align	8
	.type	fft_rtc_fwd_len528_factors_4_4_3_11_wgs_48_tpt_48_halfLds_sp_op_CI_CI_sbrr_dirReg,@function
fft_rtc_fwd_len528_factors_4_4_3_11_wgs_48_tpt_48_halfLds_sp_op_CI_CI_sbrr_dirReg: ; @fft_rtc_fwd_len528_factors_4_4_3_11_wgs_48_tpt_48_halfLds_sp_op_CI_CI_sbrr_dirReg
; %bb.0:
	s_load_dwordx4 s[12:15], s[0:1], 0x18
	s_load_dwordx4 s[4:7], s[0:1], 0x0
	;; [unrolled: 1-line block ×3, first 2 shown]
	v_mul_u32_u24_e32 v1, 0x556, v0
	v_add_u32_sdwa v10, s2, v1 dst_sel:DWORD dst_unused:UNUSED_PAD src0_sel:DWORD src1_sel:WORD_1
	s_waitcnt lgkmcnt(0)
	s_load_dwordx2 s[18:19], s[12:13], 0x0
	s_load_dwordx2 s[16:17], s[14:15], 0x0
	v_mov_b32_e32 v2, 0
	v_cmp_lt_u64_e64 s[2:3], s[6:7], 2
	v_mov_b32_e32 v11, v2
	s_and_b64 vcc, exec, s[2:3]
	v_mov_b64_e32 v[8:9], 0
	s_cbranch_vccnz .LBB0_8
; %bb.1:
	s_load_dwordx2 s[2:3], s[0:1], 0x10
	s_add_u32 s20, s14, 8
	s_addc_u32 s21, s15, 0
	s_add_u32 s22, s12, 8
	s_addc_u32 s23, s13, 0
	s_waitcnt lgkmcnt(0)
	s_add_u32 s24, s2, 8
	v_mov_b64_e32 v[8:9], 0
	s_addc_u32 s25, s3, 0
	s_mov_b64 s[26:27], 1
	v_mov_b64_e32 v[4:5], v[8:9]
.LBB0_2:                                ; =>This Inner Loop Header: Depth=1
	s_load_dwordx2 s[28:29], s[24:25], 0x0
                                        ; implicit-def: $vgpr6_vgpr7
	s_waitcnt lgkmcnt(0)
	v_or_b32_e32 v3, s29, v11
	v_cmp_ne_u64_e32 vcc, 0, v[2:3]
	s_and_saveexec_b64 s[2:3], vcc
	s_xor_b64 s[30:31], exec, s[2:3]
	s_cbranch_execz .LBB0_4
; %bb.3:                                ;   in Loop: Header=BB0_2 Depth=1
	v_cvt_f32_u32_e32 v1, s28
	v_cvt_f32_u32_e32 v3, s29
	s_sub_u32 s2, 0, s28
	s_subb_u32 s3, 0, s29
	v_fmac_f32_e32 v1, 0x4f800000, v3
	v_rcp_f32_e32 v1, v1
	s_nop 0
	v_mul_f32_e32 v1, 0x5f7ffffc, v1
	v_mul_f32_e32 v3, 0x2f800000, v1
	v_trunc_f32_e32 v3, v3
	v_fmac_f32_e32 v1, 0xcf800000, v3
	v_cvt_u32_f32_e32 v3, v3
	v_cvt_u32_f32_e32 v1, v1
	v_mul_lo_u32 v6, s2, v3
	v_mul_hi_u32 v12, s2, v1
	v_mul_lo_u32 v7, s3, v1
	v_add_u32_e32 v12, v12, v6
	v_mul_lo_u32 v14, s2, v1
	v_add_u32_e32 v15, v12, v7
	v_mul_hi_u32 v6, v1, v14
	v_mul_hi_u32 v13, v1, v15
	v_mul_lo_u32 v12, v1, v15
	v_mov_b32_e32 v7, v2
	v_lshl_add_u64 v[6:7], v[6:7], 0, v[12:13]
	v_mul_hi_u32 v13, v3, v14
	v_mul_lo_u32 v14, v3, v14
	v_add_co_u32_e32 v6, vcc, v6, v14
	v_mul_hi_u32 v12, v3, v15
	s_nop 0
	v_addc_co_u32_e32 v6, vcc, v7, v13, vcc
	v_mov_b32_e32 v7, v2
	s_nop 0
	v_addc_co_u32_e32 v13, vcc, 0, v12, vcc
	v_mul_lo_u32 v12, v3, v15
	v_lshl_add_u64 v[6:7], v[6:7], 0, v[12:13]
	v_add_co_u32_e32 v1, vcc, v1, v6
	v_mul_lo_u32 v12, s2, v1
	s_nop 0
	v_addc_co_u32_e32 v3, vcc, v3, v7, vcc
	v_mul_lo_u32 v6, s2, v3
	v_mul_hi_u32 v7, s2, v1
	v_add_u32_e32 v6, v7, v6
	v_mul_lo_u32 v7, s3, v1
	v_add_u32_e32 v14, v6, v7
	v_mul_hi_u32 v16, v3, v12
	v_mul_lo_u32 v17, v3, v12
	v_mul_hi_u32 v7, v1, v14
	v_mul_lo_u32 v6, v1, v14
	v_mul_hi_u32 v12, v1, v12
	v_mov_b32_e32 v13, v2
	v_lshl_add_u64 v[6:7], v[12:13], 0, v[6:7]
	v_add_co_u32_e32 v6, vcc, v6, v17
	v_mul_hi_u32 v15, v3, v14
	s_nop 0
	v_addc_co_u32_e32 v6, vcc, v7, v16, vcc
	v_mul_lo_u32 v12, v3, v14
	s_nop 0
	v_addc_co_u32_e32 v13, vcc, 0, v15, vcc
	v_mov_b32_e32 v7, v2
	v_lshl_add_u64 v[6:7], v[6:7], 0, v[12:13]
	v_add_co_u32_e32 v1, vcc, v1, v6
	v_mul_hi_u32 v12, v10, v1
	s_nop 0
	v_addc_co_u32_e32 v3, vcc, v3, v7, vcc
	v_mad_u64_u32 v[6:7], s[2:3], v10, v3, 0
	v_mov_b32_e32 v13, v2
	v_lshl_add_u64 v[6:7], v[12:13], 0, v[6:7]
	v_mad_u64_u32 v[14:15], s[2:3], v11, v1, 0
	v_add_co_u32_e32 v1, vcc, v6, v14
	v_mad_u64_u32 v[12:13], s[2:3], v11, v3, 0
	s_nop 0
	v_addc_co_u32_e32 v6, vcc, v7, v15, vcc
	v_mov_b32_e32 v7, v2
	s_nop 0
	v_addc_co_u32_e32 v13, vcc, 0, v13, vcc
	v_lshl_add_u64 v[6:7], v[6:7], 0, v[12:13]
	v_mul_lo_u32 v1, s29, v6
	v_mul_lo_u32 v3, s28, v7
	v_mad_u64_u32 v[12:13], s[2:3], s28, v6, 0
	v_add3_u32 v1, v13, v3, v1
	v_sub_u32_e32 v3, v11, v1
	v_mov_b32_e32 v13, s29
	v_sub_co_u32_e32 v16, vcc, v10, v12
	v_lshl_add_u64 v[14:15], v[6:7], 0, 1
	s_nop 0
	v_subb_co_u32_e64 v3, s[2:3], v3, v13, vcc
	v_subrev_co_u32_e64 v12, s[2:3], s28, v16
	v_subb_co_u32_e32 v1, vcc, v11, v1, vcc
	s_nop 0
	v_subbrev_co_u32_e64 v3, s[2:3], 0, v3, s[2:3]
	v_cmp_le_u32_e64 s[2:3], s29, v3
	v_cmp_le_u32_e32 vcc, s29, v1
	s_nop 0
	v_cndmask_b32_e64 v13, 0, -1, s[2:3]
	v_cmp_le_u32_e64 s[2:3], s28, v12
	s_nop 1
	v_cndmask_b32_e64 v12, 0, -1, s[2:3]
	v_cmp_eq_u32_e64 s[2:3], s29, v3
	s_nop 1
	v_cndmask_b32_e64 v3, v13, v12, s[2:3]
	v_lshl_add_u64 v[12:13], v[6:7], 0, 2
	v_cmp_ne_u32_e64 s[2:3], 0, v3
	s_nop 1
	v_cndmask_b32_e64 v3, v15, v13, s[2:3]
	v_cndmask_b32_e64 v13, 0, -1, vcc
	v_cmp_le_u32_e32 vcc, s28, v16
	s_nop 1
	v_cndmask_b32_e64 v15, 0, -1, vcc
	v_cmp_eq_u32_e32 vcc, s29, v1
	s_nop 1
	v_cndmask_b32_e32 v1, v13, v15, vcc
	v_cmp_ne_u32_e32 vcc, 0, v1
	v_cndmask_b32_e64 v1, v14, v12, s[2:3]
	s_nop 0
	v_cndmask_b32_e32 v7, v7, v3, vcc
	v_cndmask_b32_e32 v6, v6, v1, vcc
.LBB0_4:                                ;   in Loop: Header=BB0_2 Depth=1
	s_andn2_saveexec_b64 s[2:3], s[30:31]
	s_cbranch_execz .LBB0_6
; %bb.5:                                ;   in Loop: Header=BB0_2 Depth=1
	v_cvt_f32_u32_e32 v1, s28
	s_sub_i32 s30, 0, s28
	v_rcp_iflag_f32_e32 v1, v1
	s_nop 0
	v_mul_f32_e32 v1, 0x4f7ffffe, v1
	v_cvt_u32_f32_e32 v1, v1
	v_mul_lo_u32 v3, s30, v1
	v_mul_hi_u32 v3, v1, v3
	v_add_u32_e32 v1, v1, v3
	v_mul_hi_u32 v1, v10, v1
	v_mul_lo_u32 v3, v1, s28
	v_sub_u32_e32 v3, v10, v3
	v_add_u32_e32 v6, 1, v1
	v_subrev_u32_e32 v7, s28, v3
	v_cmp_le_u32_e32 vcc, s28, v3
	s_nop 1
	v_cndmask_b32_e32 v3, v3, v7, vcc
	v_cndmask_b32_e32 v1, v1, v6, vcc
	v_add_u32_e32 v6, 1, v1
	v_cmp_le_u32_e32 vcc, s28, v3
	v_mov_b32_e32 v7, v2
	s_nop 0
	v_cndmask_b32_e32 v6, v1, v6, vcc
.LBB0_6:                                ;   in Loop: Header=BB0_2 Depth=1
	s_or_b64 exec, exec, s[2:3]
	v_mad_u64_u32 v[12:13], s[2:3], v6, s28, 0
	s_load_dwordx2 s[2:3], s[22:23], 0x0
	v_mul_lo_u32 v1, v7, s28
	v_mul_lo_u32 v3, v6, s29
	s_load_dwordx2 s[28:29], s[20:21], 0x0
	s_add_u32 s26, s26, 1
	v_add3_u32 v1, v13, v3, v1
	v_sub_co_u32_e32 v3, vcc, v10, v12
	s_addc_u32 s27, s27, 0
	s_nop 0
	v_subb_co_u32_e32 v1, vcc, v11, v1, vcc
	s_add_u32 s20, s20, 8
	s_waitcnt lgkmcnt(0)
	v_mul_lo_u32 v10, s2, v1
	v_mul_lo_u32 v11, s3, v3
	v_mad_u64_u32 v[8:9], s[2:3], s2, v3, v[8:9]
	s_addc_u32 s21, s21, 0
	v_add3_u32 v9, v11, v9, v10
	v_mul_lo_u32 v1, s28, v1
	v_mul_lo_u32 v10, s29, v3
	v_mad_u64_u32 v[4:5], s[2:3], s28, v3, v[4:5]
	s_add_u32 s22, s22, 8
	v_add3_u32 v5, v10, v5, v1
	s_addc_u32 s23, s23, 0
	v_mov_b64_e32 v[10:11], s[6:7]
	s_add_u32 s24, s24, 8
	v_cmp_ge_u64_e32 vcc, s[26:27], v[10:11]
	s_addc_u32 s25, s25, 0
	s_cbranch_vccnz .LBB0_9
; %bb.7:                                ;   in Loop: Header=BB0_2 Depth=1
	v_mov_b64_e32 v[10:11], v[6:7]
	s_branch .LBB0_2
.LBB0_8:
	v_mov_b64_e32 v[4:5], v[8:9]
	v_mov_b64_e32 v[6:7], v[10:11]
.LBB0_9:
	s_load_dwordx2 s[0:1], s[0:1], 0x28
	s_lshl_b64 s[20:21], s[6:7], 3
	s_add_u32 s6, s14, s20
	s_addc_u32 s7, s15, s21
                                        ; implicit-def: $sgpr14
                                        ; implicit-def: $sgpr15
                                        ; implicit-def: $vgpr43
                                        ; implicit-def: $vgpr44
	s_waitcnt lgkmcnt(0)
	v_cmp_gt_u64_e32 vcc, s[0:1], v[6:7]
	v_cmp_le_u64_e64 s[0:1], s[0:1], v[6:7]
	s_and_saveexec_b64 s[2:3], s[0:1]
	s_xor_b64 s[0:1], exec, s[2:3]
; %bb.10:
	s_mov_b32 s2, 0x5555556
	v_mul_hi_u32 v1, v0, s2
	v_mul_u32_u24_e32 v1, 48, v1
	v_sub_u32_e32 v43, v0, v1
	v_add_u32_e32 v44, 48, v43
	s_mov_b32 s15, 0
	s_mov_b32 s14, 0
                                        ; implicit-def: $vgpr0
                                        ; implicit-def: $vgpr8_vgpr9
; %bb.11:
	s_or_saveexec_b64 s[2:3], s[0:1]
	s_load_dwordx2 s[6:7], s[6:7], 0x0
	v_mov_b32_e32 v42, s15
	v_mov_b32_e32 v16, s14
	;; [unrolled: 1-line block ×5, first 2 shown]
                                        ; implicit-def: $vgpr26
                                        ; implicit-def: $vgpr33
                                        ; implicit-def: $vgpr15
                                        ; implicit-def: $vgpr28
                                        ; implicit-def: $vgpr1
                                        ; implicit-def: $vgpr10
                                        ; implicit-def: $vgpr20
                                        ; implicit-def: $vgpr37
                                        ; implicit-def: $vgpr14
                                        ; implicit-def: $vgpr12
                                        ; implicit-def: $vgpr32
                                        ; implicit-def: $vgpr18
                                        ; implicit-def: $vgpr24
                                        ; implicit-def: $vgpr35
                                        ; implicit-def: $vgpr23
	s_xor_b64 exec, exec, s[2:3]
	s_cbranch_execz .LBB0_15
; %bb.12:
	s_add_u32 s0, s12, s20
	s_addc_u32 s1, s13, s21
	s_load_dwordx2 s[0:1], s[0:1], 0x0
	s_mov_b32 s12, 0x5555556
                                        ; implicit-def: $vgpr28
	s_waitcnt lgkmcnt(0)
	v_mul_lo_u32 v1, s1, v6
	v_mul_lo_u32 v10, s0, v7
	v_mad_u64_u32 v[2:3], s[0:1], s0, v6, 0
	v_add3_u32 v3, v3, v10, v1
	v_mul_hi_u32 v1, v0, s12
	v_mul_u32_u24_e32 v1, 48, v1
	v_sub_u32_e32 v43, v0, v1
	v_lshl_add_u64 v[2:3], v[2:3], 3, s[8:9]
	v_mad_u64_u32 v[0:1], s[0:1], s18, v43, 0
	v_lshl_add_u64 v[20:21], v[8:9], 3, v[2:3]
	v_add_u32_e32 v9, 0x84, v43
	v_mov_b32_e32 v10, v1
	v_mad_u64_u32 v[2:3], s[0:1], s18, v9, 0
	v_mad_u64_u32 v[10:11], s[0:1], s19, v43, v[10:11]
	v_mov_b32_e32 v8, v3
	v_mad_u64_u32 v[8:9], s[0:1], s19, v9, v[8:9]
	v_add_u32_e32 v11, 0x108, v43
	v_mov_b32_e32 v3, v8
	v_mad_u64_u32 v[8:9], s[0:1], s18, v11, 0
	v_mov_b32_e32 v1, v10
	v_mov_b32_e32 v10, v9
	v_mad_u64_u32 v[10:11], s[0:1], s19, v11, v[10:11]
	v_mov_b32_e32 v9, v10
	v_add_u32_e32 v11, 0x18c, v43
	v_lshl_add_u64 v[14:15], v[8:9], 3, v[20:21]
	v_mad_u64_u32 v[8:9], s[0:1], s18, v11, 0
	v_mov_b32_e32 v10, v9
	v_mad_u64_u32 v[10:11], s[0:1], s19, v11, v[10:11]
	v_lshl_add_u64 v[0:1], v[0:1], 3, v[20:21]
	v_mov_b32_e32 v9, v10
	v_add_u32_e32 v44, 48, v43
	v_lshl_add_u64 v[2:3], v[2:3], 3, v[20:21]
	v_lshl_add_u64 v[16:17], v[8:9], 3, v[20:21]
	global_load_dwordx2 v[10:11], v[0:1], off
	global_load_dwordx2 v[24:25], v[2:3], off
	;; [unrolled: 1-line block ×4, first 2 shown]
	v_mad_u64_u32 v[0:1], s[0:1], s18, v44, 0
	v_mov_b32_e32 v2, v1
	v_mad_u64_u32 v[2:3], s[0:1], s19, v44, v[2:3]
	v_add_u32_e32 v15, 0xb4, v43
	v_mov_b32_e32 v1, v2
	v_mad_u64_u32 v[2:3], s[0:1], s18, v15, 0
	v_mov_b32_e32 v14, v3
	v_mad_u64_u32 v[14:15], s[0:1], s19, v15, v[14:15]
	v_add_u32_e32 v17, 0x138, v43
	v_mov_b32_e32 v3, v14
	v_mad_u64_u32 v[14:15], s[0:1], s18, v17, 0
	v_mov_b32_e32 v16, v15
	v_mad_u64_u32 v[16:17], s[0:1], s19, v17, v[16:17]
	v_mov_b32_e32 v15, v16
	v_add_u32_e32 v19, 0x1bc, v43
	v_lshl_add_u64 v[16:17], v[14:15], 3, v[20:21]
	v_mad_u64_u32 v[14:15], s[0:1], s18, v19, 0
	v_mov_b32_e32 v18, v15
	v_mad_u64_u32 v[18:19], s[0:1], s19, v19, v[18:19]
	v_lshl_add_u64 v[0:1], v[0:1], 3, v[20:21]
	v_mov_b32_e32 v15, v18
	v_lshl_add_u64 v[2:3], v[2:3], 3, v[20:21]
	v_lshl_add_u64 v[26:27], v[14:15], 3, v[20:21]
	global_load_dwordx2 v[18:19], v[0:1], off
	global_load_dwordx2 v[22:23], v[2:3], off
	;; [unrolled: 1-line block ×4, first 2 shown]
	v_cmp_gt_u32_e64 s[0:1], 36, v43
	v_mov_b32_e32 v3, 0
	v_mov_b32_e32 v2, 0
	;; [unrolled: 1-line block ×4, first 2 shown]
                                        ; implicit-def: $vgpr1
                                        ; implicit-def: $vgpr27
	s_and_saveexec_b64 s[8:9], s[0:1]
	s_cbranch_execz .LBB0_14
; %bb.13:
	v_add_u32_e32 v3, 0x60, v43
	v_mad_u64_u32 v[0:1], s[0:1], s18, v3, 0
	v_mov_b32_e32 v2, v1
	v_mad_u64_u32 v[2:3], s[0:1], s19, v3, v[2:3]
	v_mov_b32_e32 v1, v2
	v_lshl_add_u64 v[0:1], v[0:1], 3, v[20:21]
	v_add_u32_e32 v17, 0xe4, v43
	global_load_dwordx2 v[2:3], v[0:1], off
	v_mad_u64_u32 v[0:1], s[0:1], s18, v17, 0
	v_mov_b32_e32 v16, v1
	v_mad_u64_u32 v[16:17], s[0:1], s19, v17, v[16:17]
	v_mov_b32_e32 v1, v16
	v_add_u32_e32 v17, 0x168, v43
	v_lshl_add_u64 v[28:29], v[0:1], 3, v[20:21]
	v_mad_u64_u32 v[0:1], s[0:1], s18, v17, 0
	v_mov_b32_e32 v16, v1
	v_mad_u64_u32 v[16:17], s[0:1], s19, v17, v[16:17]
	v_mov_b32_e32 v1, v16
	v_add_u32_e32 v17, 0x1ec, v43
	v_lshl_add_u64 v[32:33], v[0:1], 3, v[20:21]
	v_mad_u64_u32 v[0:1], s[0:1], s18, v17, 0
	v_mov_b32_e32 v16, v1
	v_mad_u64_u32 v[16:17], s[0:1], s19, v17, v[16:17]
	v_mov_b32_e32 v1, v16
	v_lshl_add_u64 v[20:21], v[0:1], 3, v[20:21]
	global_load_dwordx2 v[26:27], v[20:21], off
	global_load_dwordx2 v[0:1], v[32:33], off
	;; [unrolled: 1-line block ×3, first 2 shown]
	s_waitcnt vmcnt(1)
	v_mov_b32_e32 v28, v0
.LBB0_14:
	s_or_b64 exec, exec, s[8:9]
	v_mov_b32_e32 v42, v43
	s_waitcnt vmcnt(0)
	v_mov_b32_e32 v33, v14
	v_mov_b32_e32 v20, v11
	;; [unrolled: 1-line block ×11, first 2 shown]
.LBB0_15:
	s_or_b64 exec, exec, s[2:3]
	v_mov_b32_e32 v29, 2.0
	v_pk_mul_f32 v[8:9], v[2:3], v[28:29] op_sel_hi:[0,1]
	v_pk_add_f32 v[30:31], v[2:3], v[28:29] op_sel_hi:[0,1] neg_lo:[0,1] neg_hi:[0,1]
	v_add_f32_e32 v8, v16, v16
	v_mov_b32_e32 v28, v29
	v_mov_b32_e32 v29, v30
	v_pk_add_f32 v[26:27], v[16:17], v[26:27] neg_lo:[0,1] neg_hi:[0,1]
	v_pk_add_f32 v[40:41], v[8:9], v[28:29] neg_lo:[0,1] neg_hi:[0,1]
	v_pk_add_f32 v[28:29], v[30:31], v[30:31]
	v_mov_b32_e32 v9, v30
	v_mov_b32_e32 v29, v41
	v_pk_add_f32 v[38:39], v[8:9], v[26:27] neg_lo:[0,1] neg_hi:[0,1]
	v_mov_b32_e32 v0, v11
	v_pk_add_f32 v[30:31], v[14:15], v[32:33] op_sel_hi:[1,0] neg_lo:[0,1] neg_hi:[0,1]
	v_add_f32_e32 v36, v14, v14
	v_pk_add_f32 v[8:9], v[28:29], v[38:39] op_sel:[0,1] op_sel_hi:[1,0] neg_lo:[0,1] neg_hi:[0,1]
	v_pk_add_f32 v[28:29], v[10:11], v[0:1] neg_lo:[0,1] neg_hi:[0,1]
	v_mov_b32_e32 v31, v12
	v_fma_f32 v10, v10, 2.0, -v28
	v_mov_b32_e32 v11, v28
	v_pk_add_f32 v[28:29], v[36:37], v[30:31] neg_lo:[0,1] neg_hi:[0,1]
	v_mov_b32_e32 v13, v30
	v_fma_f32 v12, v37, 2.0, -v29
	v_pk_add_f32 v[12:13], v[10:11], v[12:13] neg_lo:[0,1] neg_hi:[0,1]
	v_add_f32_e32 v34, v23, v23
	v_lshl_add_u32 v45, v43, 4, 0
	v_pk_fma_f32 v[10:11], v[10:11], 2.0, v[12:13] op_sel_hi:[1,0,1] neg_lo:[0,0,1] neg_hi:[0,0,1]
	v_mov_b32_e32 v0, v19
	v_sub_f32_e32 v32, v23, v15
	ds_write2_b64 v45, v[10:11], v[12:13] offset1:1
	v_pk_add_f32 v[10:11], v[18:19], v[0:1] neg_lo:[0,1] neg_hi:[0,1]
	v_pk_add_f32 v[30:31], v[34:35], v[32:33] neg_lo:[0,1] neg_hi:[0,1]
	v_fma_f32 v12, v18, 2.0, -v10
	v_mov_b32_e32 v13, v10
	v_fma_f32 v10, v35, 2.0, -v31
	v_mov_b32_e32 v11, v32
	v_pk_add_f32 v[10:11], v[12:13], v[10:11] neg_lo:[0,1] neg_hi:[0,1]
	v_lshl_add_u32 v37, v44, 4, 0
	v_pk_fma_f32 v[12:13], v[12:13], 2.0, v[10:11] op_sel_hi:[1,0,1] neg_lo:[0,0,1] neg_hi:[0,0,1]
	v_cmp_gt_u32_e64 s[0:1], 36, v43
	v_cmp_lt_u32_e64 s[2:3], 35, v43
	ds_write2_b64 v37, v[12:13], v[10:11] offset1:1
                                        ; implicit-def: $vgpr14
	s_and_saveexec_b64 s[8:9], s[2:3]
	s_xor_b64 s[8:9], exec, s[8:9]
; %bb.16:
	v_mov_b32_e32 v14, v39
                                        ; implicit-def: $vgpr38_vgpr39
; %bb.17:
	s_or_saveexec_b64 s[8:9], s[8:9]
	v_add_u32_e32 v40, 0x60, v43
	v_fma_f32 v15, v41, 2.0, -v9
	v_lshl_add_u32 v33, v40, 4, 0
	s_xor_b64 exec, exec, s[8:9]
	s_cbranch_execz .LBB0_19
; %bb.18:
	v_mov_b32_e32 v10, v15
	v_mov_b32_e32 v11, v8
	v_mov_b32_e32 v38, v9
	v_mov_b32_e32 v14, v39
	ds_write2_b64 v33, v[10:11], v[38:39] offset1:1
.LBB0_19:
	s_or_b64 exec, exec, s[8:9]
	v_mad_i32_i24 v0, v43, -12, v45
	v_add_u32_e32 v10, 0x200, v0
	s_waitcnt lgkmcnt(0)
	; wave barrier
	s_waitcnt lgkmcnt(0)
	ds_read2_b32 v[12:13], v10 offset0:52 offset1:136
	v_add_u32_e32 v10, 0x400, v0
	v_mad_i32_i24 v16, v44, -12, v37
	ds_read2_b32 v[18:19], v0 offset1:132
	ds_read2_b32 v[10:11], v10 offset0:56 offset1:140
	ds_read_b32 v32, v16
	ds_read_b32 v38, v0 offset:1776
	v_mul_i32_i24_e32 v0, -12, v43
                                        ; implicit-def: $vgpr22_vgpr23
	s_and_saveexec_b64 s[8:9], s[2:3]
	s_xor_b64 s[8:9], exec, s[8:9]
; %bb.20:
	v_mov_b64_e32 v[22:23], v[8:9]
; %bb.21:
	s_or_saveexec_b64 s[8:9], s[8:9]
	v_add_u32_e32 v36, v45, v0
	s_xor_b64 exec, exec, s[8:9]
	s_cbranch_execz .LBB0_23
; %bb.22:
	v_add_u32_e32 v0, 0x400, v36
	ds_read2_b32 v[8:9], v36 offset0:96 offset1:228
	ds_read2_b32 v[34:35], v0 offset0:104 offset1:236
	s_waitcnt lgkmcnt(1)
	v_mov_b32_e32 v22, v9
	v_mov_b32_e32 v15, v8
	s_waitcnt lgkmcnt(0)
	v_mov_b32_e32 v23, v34
	v_mov_b32_e32 v14, v35
	;; [unrolled: 1-line block ×4, first 2 shown]
.LBB0_23:
	s_or_b64 exec, exec, s[8:9]
	v_mov_b32_e32 v0, v21
	v_pk_add_f32 v[34:35], v[20:21], v[0:1] neg_lo:[0,1] neg_hi:[0,1]
	v_mov_b32_e32 v0, v25
	v_fma_f32 v20, v20, 2.0, -v34
	v_mov_b32_e32 v21, v34
	v_pk_add_f32 v[34:35], v[24:25], v[0:1] neg_lo:[0,1] neg_hi:[0,1]
	s_waitcnt lgkmcnt(0)
	v_fma_f32 v24, v24, 2.0, -v34
	v_mov_b32_e32 v25, v34
	v_mov_b32_e32 v35, 2.0
	v_mov_b32_e32 v34, v1
	v_pk_add_f32 v[0:1], v[2:3], v[2:3]
	v_pk_add_f32 v[46:47], v[2:3], v[34:35] op_sel:[1,0] neg_lo:[0,1] neg_hi:[0,1]
	v_add_f32_e32 v0, v17, v17
	v_mov_b32_e32 v2, v35
	v_mov_b32_e32 v3, v46
	v_pk_add_f32 v[2:3], v[0:1], v[2:3] neg_lo:[0,1] neg_hi:[0,1]
	v_mov_b32_e32 v1, v46
	v_pk_add_f32 v[16:17], v[46:47], v[46:47]
	v_pk_add_f32 v[34:35], v[0:1], v[26:27] op_sel:[0,1] op_sel_hi:[1,0] neg_lo:[0,1] neg_hi:[0,1]
	v_pk_add_f32 v[0:1], v[0:1], v[26:27] op_sel:[0,1] op_sel_hi:[1,0]
	v_mov_b32_e32 v17, v3
	v_mov_b32_e32 v26, v1
	;; [unrolled: 1-line block ×3, first 2 shown]
	v_pk_add_f32 v[16:17], v[16:17], v[26:27] neg_lo:[0,1] neg_hi:[0,1]
	v_pk_add_f32 v[26:27], v[20:21], v[28:29] neg_lo:[0,1] neg_hi:[0,1]
	v_pk_add_f32 v[28:29], v[20:21], v[28:29]
	v_pk_add_f32 v[34:35], v[24:25], v[30:31] neg_lo:[0,1] neg_hi:[0,1]
	v_mov_b32_e32 v27, v29
	v_pk_add_f32 v[30:31], v[24:25], v[30:31]
	v_pk_fma_f32 v[20:21], v[20:21], 2.0, v[26:27] op_sel_hi:[1,0,1] neg_lo:[0,0,1] neg_hi:[0,0,1]
	v_mov_b32_e32 v35, v31
	v_pk_fma_f32 v[24:25], v[24:25], 2.0, v[34:35] op_sel_hi:[1,0,1] neg_lo:[0,0,1] neg_hi:[0,0,1]
	; wave barrier
	ds_write2_b64 v45, v[20:21], v[26:27] offset1:1
	ds_write2_b64 v37, v[24:25], v[34:35] offset1:1
                                        ; implicit-def: $vgpr30
	s_and_saveexec_b64 s[8:9], s[2:3]
	s_xor_b64 s[8:9], exec, s[8:9]
; %bb.24:
	v_mov_b32_e32 v30, v1
                                        ; implicit-def: $vgpr0_vgpr1
                                        ; implicit-def: $vgpr33
; %bb.25:
	s_or_saveexec_b64 s[8:9], s[8:9]
	v_mul_i32_i24_e32 v2, -12, v44
	v_fma_f32 v20, v3, 2.0, -v17
	s_xor_b64 exec, exec, s[8:9]
	s_cbranch_execz .LBB0_27
; %bb.26:
	v_mov_b32_e32 v21, v16
	v_mov_b32_e32 v0, v17
	;; [unrolled: 1-line block ×3, first 2 shown]
	ds_write2_b64 v33, v[20:21], v[0:1] offset1:1
.LBB0_27:
	s_or_b64 exec, exec, s[8:9]
	v_add_u32_e32 v0, 0x200, v36
	s_waitcnt lgkmcnt(0)
	; wave barrier
	s_waitcnt lgkmcnt(0)
	ds_read2_b32 v[28:29], v0 offset0:52 offset1:136
	v_add_u32_e32 v0, 0x400, v36
	v_add_u32_e32 v37, v37, v2
	ds_read2_b32 v[24:25], v36 offset1:132
	ds_read2_b32 v[26:27], v0 offset0:56 offset1:140
	ds_read_b32 v39, v37
	ds_read_b32 v31, v36 offset:1776
                                        ; implicit-def: $vgpr34_vgpr35
	s_and_saveexec_b64 s[8:9], s[2:3]
	s_xor_b64 s[8:9], exec, s[8:9]
; %bb.28:
	v_mov_b64_e32 v[34:35], v[16:17]
; %bb.29:
	s_or_saveexec_b64 s[8:9], s[8:9]
	v_lshlrev_b32_e32 v33, 2, v43
	v_lshlrev_b32_e32 v41, 2, v44
	s_xor_b64 exec, exec, s[8:9]
	s_cbranch_execz .LBB0_31
; %bb.30:
	v_add_u32_e32 v0, 0x400, v36
	ds_read2_b32 v[20:21], v36 offset0:96 offset1:228
	ds_read2_b32 v[0:1], v0 offset0:104 offset1:236
	s_waitcnt lgkmcnt(1)
	v_mov_b32_e32 v34, v21
	s_waitcnt lgkmcnt(0)
	v_mov_b32_e32 v35, v0
	v_mov_b32_e32 v17, v0
	;; [unrolled: 1-line block ×4, first 2 shown]
.LBB0_31:
	s_or_b64 exec, exec, s[8:9]
	v_and_b32_e32 v21, 3, v43
	v_mul_u32_u24_e32 v0, 3, v21
	v_lshlrev_b32_e32 v45, 3, v0
	global_load_dwordx4 v[0:3], v45, s[4:5]
	global_load_dwordx2 v[48:49], v45, s[4:5] offset:16
	s_movk_i32 s8, 0xf0
	v_and_or_b32 v33, v33, s8, v21
	v_lshl_add_u32 v45, v33, 2, 0
	v_add_f32_e32 v50, v15, v15
	v_mov_b32_e32 v53, 2.0
	s_movk_i32 s9, 0x1f0
	v_and_or_b32 v41, v41, s9, v21
	s_waitcnt lgkmcnt(0)
	; wave barrier
	s_waitcnt lgkmcnt(0)
	v_lshl_add_u32 v41, v41, 2, 0
	s_waitcnt vmcnt(1)
	v_mul_f32_e32 v51, v25, v1
	v_mul_f32_e32 v47, v19, v1
	v_mul_f32_e32 v52, v29, v3
	v_mul_f32_e32 v60, v28, v1
	v_mul_f32_e32 v46, v12, v1
	v_mul_f32_e32 v61, v26, v3
	v_mul_f32_e32 v33, v8, v1
	s_waitcnt vmcnt(0)
	v_mul_f32_e32 v64, v38, v49
	v_mov_b32_e32 v56, v1
	v_mov_b32_e32 v57, v3
	v_pk_mul_f32 v[58:59], v[30:31], v[48:49] op_sel_hi:[0,1]
	v_mul_f32_e32 v8, v27, v49
	v_mul_f32_e32 v63, v31, v49
	v_mov_b32_e32 v54, v0
	v_mov_b32_e32 v55, v2
	v_fma_f32 v19, v19, v0, -v51
	v_fmac_f32_e32 v47, v25, v0
	v_fma_f32 v25, v13, v2, -v52
	v_fma_f32 v12, v12, v0, -v60
	v_fmac_f32_e32 v46, v28, v0
	v_fma_f32 v28, v10, v2, -v61
	v_fmac_f32_e32 v33, v16, v0
	v_fmac_f32_e32 v64, v31, v48
	v_pk_mul_f32 v[0:1], v[34:35], v[56:57]
	v_pk_fma_f32 v[30:31], v[14:15], v[48:49], v[58:59] op_sel:[0,0,1] op_sel_hi:[0,1,0]
	v_mul_f32_e32 v62, v11, v49
	v_fma_f32 v8, v11, v48, -v8
	v_fma_f32 v11, v38, v48, -v63
	v_sub_f32_e32 v25, v18, v25
	v_sub_f32_e32 v30, v32, v28
	v_pk_fma_f32 v[0:1], v[22:23], v[54:55], v[0:1] neg_lo:[0,0,1] neg_hi:[0,0,1]
	v_fmac_f32_e32 v62, v27, v48
	v_pk_fma_f32 v[34:35], v[14:15], v[48:49], v[58:59] op_sel:[0,0,1] op_sel_hi:[0,1,0] neg_lo:[0,0,1] neg_hi:[0,0,1]
	v_sub_f32_e32 v16, v19, v8
	v_sub_f32_e32 v8, v12, v11
	v_fma_f32 v11, v18, 2.0, -v25
	v_fma_f32 v18, v32, 2.0, -v30
	v_mov_b32_e32 v32, v0
	v_pk_add_f32 v[14:15], v[14:15], v[0:1] neg_lo:[0,1] neg_hi:[0,1]
	v_pk_add_f32 v[0:1], v[0:1], v[0:1]
	v_sub_f32_e32 v28, v47, v62
	v_fma_f32 v19, v19, 2.0, -v16
	v_fma_f32 v12, v12, 2.0, -v8
	v_mov_b32_e32 v1, v15
	v_mov_b32_e32 v35, v31
	v_sub_f32_e32 v27, v46, v64
	v_sub_f32_e32 v31, v25, v28
	;; [unrolled: 1-line block ×4, first 2 shown]
	v_mov_b32_e32 v52, v15
	v_pk_add_f32 v[22:23], v[14:15], v[14:15]
	v_mov_b32_e32 v51, v1
	v_sub_f32_e32 v38, v30, v27
	v_fma_f32 v25, v25, 2.0, -v31
	v_pk_add_f32 v[34:35], v[32:33], v[34:35] neg_lo:[0,1] neg_hi:[0,1]
	v_fma_f32 v11, v11, 2.0, -v19
	v_fma_f32 v22, v18, 2.0, -v12
	ds_write2_b32 v45, v19, v31 offset0:8 offset1:12
	v_pk_add_f32 v[18:19], v[50:51], v[52:53] neg_lo:[0,1] neg_hi:[0,1]
	v_fma_f32 v30, v30, 2.0, -v38
	v_pk_add_f32 v[14:15], v[0:1], v[34:35] neg_lo:[0,1] neg_hi:[0,1]
	ds_write2_b32 v45, v11, v25 offset1:4
	ds_write2_b32 v41, v22, v30 offset1:4
	v_mov_b32_e32 v22, v18
	v_pk_add_f32 v[0:1], v[22:23], v[14:15] neg_lo:[0,1] neg_hi:[0,1]
	ds_write2_b32 v41, v12, v38 offset0:8 offset1:12
	s_and_saveexec_b64 s[8:9], s[2:3]
	s_xor_b64 s[2:3], exec, s[8:9]
; %bb.32:
                                        ; implicit-def: $vgpr18_vgpr19
; %bb.33:
	s_or_saveexec_b64 s[2:3], s[2:3]
	v_lshlrev_b32_e32 v32, 2, v40
	s_xor_b64 exec, exec, s[2:3]
	s_cbranch_execz .LBB0_35
; %bb.34:
	s_movk_i32 s8, 0x3f0
	v_and_or_b32 v12, v32, s8, v21
	v_fma_f32 v11, v18, 2.0, -v0
	v_lshl_add_u32 v12, v12, 2, 0
	ds_write2_b32 v12, v11, v1 offset1:4
	ds_write2_b32 v12, v0, v15 offset0:8 offset1:12
.LBB0_35:
	s_or_b64 exec, exec, s[2:3]
	v_add_u32_e32 v11, 0x400, v36
	s_waitcnt lgkmcnt(0)
	; wave barrier
	s_waitcnt lgkmcnt(0)
	ds_read2_b32 v[22:23], v11 offset0:96 offset1:144
	v_add_u32_e32 v11, 0x200, v36
	ds_read2_b32 v[18:19], v36 offset1:176
	ds_read2_b32 v[30:31], v11 offset0:96 offset1:144
	v_lshl_add_u32 v25, v43, 2, 0
	ds_read_b32 v14, v36 offset:1792
	ds_read_b32 v12, v37
	ds_read_b32 v11, v25 offset:384
	v_cmp_gt_u32_e64 s[2:3], 32, v43
	s_and_saveexec_b64 s[8:9], s[2:3]
	s_cbranch_execz .LBB0_37
; %bb.36:
	v_add_u32_e32 v0, 0x200, v25
	ds_read2_b32 v[48:49], v0 offset0:16 offset1:192
	ds_read_b32 v15, v36 offset:1984
	s_waitcnt lgkmcnt(1)
	v_mov_b32_e32 v0, v49
	v_mov_b32_e32 v1, v48
.LBB0_37:
	s_or_b64 exec, exec, s[8:9]
	v_mul_f32_e32 v13, v13, v3
	v_mul_f32_e32 v10, v10, v3
	v_fmac_f32_e32 v13, v29, v2
	v_fmac_f32_e32 v10, v26, v2
	v_mul_f32_e32 v3, v9, v3
	v_fmac_f32_e32 v3, v17, v2
	v_sub_f32_e32 v9, v24, v13
	v_sub_f32_e32 v10, v39, v10
	v_fma_f32 v13, v24, 2.0, -v9
	v_fma_f32 v17, v39, 2.0, -v10
	v_sub_f32_e32 v3, v20, v3
	v_add_f32_e32 v24, v9, v16
	v_fma_f32 v16, v46, 2.0, -v27
	v_add_f32_e32 v8, v10, v8
	v_fma_f32 v2, v20, 2.0, -v3
	v_fma_f32 v20, v47, 2.0, -v28
	v_sub_f32_e32 v26, v17, v16
	v_fma_f32 v28, v10, 2.0, -v8
	v_fma_f32 v10, v33, 2.0, -v35
	v_sub_f32_e32 v20, v13, v20
	v_fma_f32 v27, v17, 2.0, -v26
	v_sub_f32_e32 v17, v2, v10
	v_add_f32_e32 v10, v3, v34
	v_fma_f32 v13, v13, 2.0, -v20
	v_fma_f32 v9, v9, 2.0, -v24
	;; [unrolled: 1-line block ×3, first 2 shown]
	s_waitcnt lgkmcnt(0)
	; wave barrier
	s_waitcnt lgkmcnt(0)
	ds_write2_b32 v45, v13, v9 offset1:4
	ds_write2_b32 v45, v20, v24 offset0:8 offset1:12
	ds_write2_b32 v41, v27, v28 offset1:4
	ds_write2_b32 v41, v26, v8 offset0:8 offset1:12
	s_and_saveexec_b64 s[8:9], s[0:1]
	s_cbranch_execz .LBB0_39
; %bb.38:
	s_movk_i32 s0, 0x3f0
	v_and_or_b32 v3, v32, s0, v21
	v_fma_f32 v2, v2, 2.0, -v17
	v_lshl_add_u32 v3, v3, 2, 0
	ds_write2_b32 v3, v2, v16 offset1:4
	ds_write2_b32 v3, v17, v10 offset0:8 offset1:12
.LBB0_39:
	s_or_b64 exec, exec, s[8:9]
	v_add_u32_e32 v2, 0x400, v36
	v_add_u32_e32 v8, 0x200, v36
	s_waitcnt lgkmcnt(0)
	; wave barrier
	s_waitcnt lgkmcnt(0)
	ds_read2_b32 v[20:21], v36 offset1:176
	ds_read2_b32 v[2:3], v2 offset0:96 offset1:144
	ds_read2_b32 v[8:9], v8 offset0:96 offset1:144
	ds_read_b32 v27, v36 offset:1792
	ds_read_b32 v24, v37
	ds_read_b32 v13, v25 offset:384
	s_and_saveexec_b64 s[0:1], s[2:3]
	s_cbranch_execz .LBB0_41
; %bb.40:
	v_add_u32_e32 v10, 0x200, v25
	ds_read2_b32 v[16:17], v10 offset0:16 offset1:192
	ds_read_b32 v10, v36 offset:1984
.LBB0_41:
	s_or_b64 exec, exec, s[0:1]
	v_and_b32_e32 v26, 15, v43
	v_lshlrev_b32_e32 v28, 4, v26
	global_load_dwordx4 v[46:49], v28, s[4:5] offset:96
	v_lshrrev_b32_e32 v28, 4, v43
	v_lshrrev_b32_e32 v32, 4, v40
	v_mul_u32_u24_e32 v28, 48, v28
	v_mul_u32_u24_e32 v32, 48, v32
	v_lshrrev_b32_e32 v29, 4, v44
	v_or_b32_e32 v28, v28, v26
	v_or_b32_e32 v33, v32, v26
	v_lshl_add_u32 v32, v28, 2, 0
	v_lshl_add_u32 v28, v33, 2, 0
	v_mul_lo_u32 v29, v29, 48
	v_add_u32_e32 v50, 0x90, v43
	v_or_b32_e32 v29, v29, v26
	s_waitcnt lgkmcnt(0)
	; wave barrier
	s_waitcnt lgkmcnt(0)
	v_lshl_add_u32 v29, v29, 2, 0
	s_waitcnt vmcnt(0)
	v_mul_f32_e32 v45, v21, v47
	v_mul_f32_e32 v51, v2, v49
	;; [unrolled: 1-line block ×11, first 2 shown]
	v_fma_f32 v45, v19, v46, -v45
	v_fma_f32 v22, v22, v48, -v51
	v_mul_f32_e32 v38, v14, v49
	v_mul_f32_e32 v56, v17, v47
	;; [unrolled: 1-line block ×5, first 2 shown]
	v_fmac_f32_e32 v41, v21, v46
	v_fmac_f32_e32 v44, v2, v48
	v_fma_f32 v21, v30, v46, -v52
	v_fmac_f32_e32 v39, v8, v46
	v_fma_f32 v8, v23, v48, -v53
	;; [unrolled: 2-line block ×4, first 2 shown]
	v_add_f32_e32 v9, v45, v22
	v_fmac_f32_e32 v38, v27, v48
	v_fma_f32 v19, v0, v46, -v56
	v_fmac_f32_e32 v33, v17, v46
	v_fma_f32 v17, v15, v48, -v47
	v_fmac_f32_e32 v34, v10, v48
	v_add_f32_e32 v0, v18, v45
	v_sub_f32_e32 v10, v41, v44
	v_add_f32_e32 v15, v21, v8
	v_add_f32_e32 v30, v2, v3
	v_fmac_f32_e32 v18, -0.5, v9
	v_add_f32_e32 v14, v12, v21
	v_sub_f32_e32 v23, v39, v40
	v_add_f32_e32 v27, v11, v2
	v_sub_f32_e32 v31, v35, v38
	v_add_f32_e32 v0, v0, v22
	v_fmac_f32_e32 v12, -0.5, v15
	v_fmac_f32_e32 v11, -0.5, v30
	v_fmamk_f32 v15, v10, 0x3f5db3d7, v18
	v_fmac_f32_e32 v18, 0xbf5db3d7, v10
	v_add_f32_e32 v9, v14, v8
	v_add_f32_e32 v14, v27, v3
	v_fmamk_f32 v10, v23, 0x3f5db3d7, v12
	v_fmac_f32_e32 v12, 0xbf5db3d7, v23
	v_fmamk_f32 v23, v31, 0x3f5db3d7, v11
	v_fmac_f32_e32 v11, 0xbf5db3d7, v31
	ds_write2_b32 v32, v0, v15 offset1:16
	ds_write_b32 v32, v18 offset:128
	ds_write2_b32 v29, v9, v10 offset1:16
	ds_write_b32 v29, v12 offset:128
	;; [unrolled: 2-line block ×3, first 2 shown]
	v_lshrrev_b32_e32 v18, 4, v50
	s_and_saveexec_b64 s[0:1], s[2:3]
	s_cbranch_execz .LBB0_43
; %bb.42:
	v_mul_u32_u24_e32 v0, 48, v18
	v_add_f32_e32 v9, v19, v17
	v_or_b32_e32 v0, v0, v26
	v_fma_f32 v9, -0.5, v9, v1
	v_sub_f32_e32 v10, v33, v34
	v_add_f32_e32 v1, v1, v19
	v_lshl_add_u32 v0, v0, 2, 0
	v_fmamk_f32 v11, v10, 0xbf5db3d7, v9
	v_fmac_f32_e32 v9, 0x3f5db3d7, v10
	v_add_f32_e32 v1, v1, v17
	ds_write2_b32 v0, v1, v9 offset1:16
	ds_write_b32 v0, v11 offset:128
.LBB0_43:
	s_or_b64 exec, exec, s[0:1]
	v_add_f32_e32 v0, v20, v41
	v_add_f32_e32 v23, v0, v44
	v_add_f32_e32 v0, v41, v44
	v_fmac_f32_e32 v20, -0.5, v0
	v_sub_f32_e32 v0, v45, v22
	v_fmamk_f32 v22, v0, 0xbf5db3d7, v20
	v_fmac_f32_e32 v20, 0x3f5db3d7, v0
	v_add_f32_e32 v0, v24, v39
	v_add_f32_e32 v27, v0, v40
	v_add_f32_e32 v0, v39, v40
	v_fmac_f32_e32 v24, -0.5, v0
	v_sub_f32_e32 v0, v21, v8
	v_fmamk_f32 v21, v0, 0xbf5db3d7, v24
	v_fmac_f32_e32 v24, 0x3f5db3d7, v0
	;; [unrolled: 7-line block ×3, first 2 shown]
	s_waitcnt lgkmcnt(0)
	; wave barrier
	s_waitcnt lgkmcnt(0)
	ds_read2st64_b32 v[0:1], v36 offset1:3
	ds_read_b32 v12, v37
	ds_read2_b32 v[10:11], v25 offset0:96 offset1:144
	v_add_u32_e32 v2, 0x200, v36
	v_add_u32_e32 v14, 0x400, v36
	ds_read2_b32 v[2:3], v2 offset0:112 offset1:160
	ds_read2_b32 v[8:9], v14 offset0:80 offset1:128
	;; [unrolled: 1-line block ×3, first 2 shown]
	s_waitcnt lgkmcnt(0)
	; wave barrier
	s_waitcnt lgkmcnt(0)
	ds_write2_b32 v32, v23, v22 offset1:16
	ds_write_b32 v32, v20 offset:128
	ds_write2_b32 v29, v27, v21 offset1:16
	ds_write_b32 v29, v24 offset:128
	;; [unrolled: 2-line block ×3, first 2 shown]
	s_and_saveexec_b64 s[0:1], s[2:3]
	s_cbranch_execz .LBB0_45
; %bb.44:
	v_add_f32_e32 v20, v33, v34
	v_add_f32_e32 v13, v16, v33
	v_fmac_f32_e32 v16, -0.5, v20
	v_sub_f32_e32 v17, v19, v17
	v_fmamk_f32 v19, v17, 0xbf5db3d7, v16
	v_fmamk_f32 v16, v17, 0x3f5db3d7, v16
	v_mul_u32_u24_e32 v17, 48, v18
	v_or_b32_e32 v17, v17, v26
	v_add_f32_e32 v13, v13, v34
	v_lshl_add_u32 v17, v17, 2, 0
	ds_write2_b32 v17, v13, v19 offset1:16
	ds_write_b32 v17, v16 offset:128
.LBB0_45:
	s_or_b64 exec, exec, s[0:1]
	s_waitcnt lgkmcnt(0)
	; wave barrier
	s_waitcnt lgkmcnt(0)
	s_and_saveexec_b64 s[0:1], vcc
	s_cbranch_execz .LBB0_47
; %bb.46:
	v_mul_u32_u24_e32 v13, 10, v43
	v_lshlrev_b32_e32 v72, 3, v13
	global_load_dwordx4 v[16:19], v72, s[4:5] offset:416
	global_load_dwordx4 v[20:23], v72, s[4:5] offset:352
	;; [unrolled: 1-line block ×4, first 2 shown]
	v_add_u32_e32 v54, 0x400, v36
	ds_read_b32 v24, v37
	ds_read2_b32 v[34:35], v54 offset0:176 offset1:224
	ds_read2_b32 v[38:39], v25 offset0:96 offset1:144
	ds_read2st64_b32 v[50:51], v36 offset1:3
	v_mov_b32_e32 v44, v15
	v_mul_lo_u32 v43, s7, v6
	s_waitcnt lgkmcnt(2)
	v_mov_b32_e32 v46, v35
	v_mul_lo_u32 v60, s6, v7
	v_mad_u64_u32 v[6:7], s[0:1], s6, v6, 0
	v_mad_u64_u32 v[40:41], s[0:1], s16, v42, 0
	v_add3_u32 v7, v7, v60, v43
	v_lshl_add_u64 v[6:7], v[6:7], 3, s[10:11]
	s_mov_b32 s2, 0xbf0a6770
	s_mov_b32 s18, 0xbf68dda4
	;; [unrolled: 1-line block ×9, first 2 shown]
	s_waitcnt vmcnt(3)
	v_mov_b32_e32 v48, v19
	v_mov_b32_e32 v49, v18
	v_pk_mul_f32 v[34:35], v[34:35], v[16:17] op_sel:[0,1] op_sel_hi:[0,0]
	v_pk_mul_f32 v[46:47], v[46:47], v[48:49] op_sel_hi:[0,1]
	v_pk_fma_f32 v[48:49], v[14:15], v[16:17], v[34:35] neg_lo:[0,0,1] neg_hi:[0,0,1]
	v_pk_fma_f32 v[34:35], v[14:15], v[16:17], v[34:35] op_sel_hi:[0,1,1]
	v_mov_b32_e32 v14, v15
	v_pk_fma_f32 v[44:45], v[44:45], v[18:19], v[46:47] neg_lo:[0,0,1] neg_hi:[0,0,1]
	v_pk_fma_f32 v[18:19], v[14:15], v[18:19], v[46:47] op_sel_hi:[0,1,1]
	s_waitcnt vmcnt(2)
	v_pk_mul_f32 v[16:17], v[24:25], v[20:21] op_sel:[0,1] op_sel_hi:[0,0]
	v_mov_b32_e32 v24, v23
	v_mov_b32_e32 v25, v22
	v_pk_fma_f32 v[46:47], v[12:13], v[20:21], v[16:17] neg_lo:[0,0,1] neg_hi:[0,0,1]
	v_pk_fma_f32 v[20:21], v[12:13], v[20:21], v[16:17] op_sel_hi:[0,1,1]
	s_waitcnt lgkmcnt(1)
	v_pk_mul_f32 v[12:13], v[38:39], v[24:25] op_sel_hi:[0,1]
	v_mov_b32_e32 v18, v39
	v_mov_b32_e32 v14, v11
	v_pk_fma_f32 v[24:25], v[10:11], v[22:23], v[12:13] neg_lo:[0,0,1] neg_hi:[0,0,1]
	v_pk_fma_f32 v[52:53], v[10:11], v[22:23], v[12:13] op_sel_hi:[0,1,1]
	v_mov_b32_e32 v10, v11
	s_waitcnt vmcnt(1)
	v_pk_mul_f32 v[22:23], v[18:19], v[26:27] op_sel:[0,1] op_sel_hi:[0,0]
	s_waitcnt lgkmcnt(0)
	v_mov_b32_e32 v20, v51
	v_pk_fma_f32 v[38:39], v[14:15], v[26:27], v[22:23] neg_lo:[0,0,1] neg_hi:[0,0,1]
	v_pk_fma_f32 v[26:27], v[10:11], v[26:27], v[22:23] op_sel_hi:[0,1,1]
	v_mov_b32_e32 v10, v29
	v_mov_b32_e32 v11, v28
	v_pk_mul_f32 v[10:11], v[20:21], v[10:11] op_sel_hi:[0,1]
	v_mov_b32_e32 v47, v21
	v_mov_b32_e32 v45, v19
	global_load_dwordx4 v[18:21], v72, s[4:5] offset:384
	ds_read2_b32 v[16:17], v54 offset0:80 offset1:128
	v_mov_b32_e32 v12, v1
	v_mov_b32_e32 v14, v1
	v_pk_fma_f32 v[54:55], v[12:13], v[28:29], v[10:11] neg_lo:[0,0,1] neg_hi:[0,0,1]
	v_pk_fma_f32 v[28:29], v[14:15], v[28:29], v[10:11] op_sel_hi:[0,1,1]
	s_waitcnt lgkmcnt(0)
	v_mov_b32_e32 v12, v17
	s_waitcnt vmcnt(1)
	v_mov_b32_e32 v14, v33
	v_mov_b32_e32 v15, v32
	v_pk_mul_f32 v[16:17], v[16:17], v[30:31] op_sel:[0,1] op_sel_hi:[0,0]
	v_mov_b32_e32 v10, v9
	v_pk_mul_f32 v[12:13], v[12:13], v[14:15] op_sel_hi:[0,1]
	v_pk_fma_f32 v[56:57], v[8:9], v[30:31], v[16:17] neg_lo:[0,0,1] neg_hi:[0,0,1]
	v_pk_fma_f32 v[30:31], v[8:9], v[30:31], v[16:17] op_sel_hi:[0,1,1]
	v_mov_b32_e32 v8, v9
	v_pk_fma_f32 v[58:59], v[10:11], v[32:33], v[12:13] neg_lo:[0,0,1] neg_hi:[0,0,1]
	v_pk_fma_f32 v[32:33], v[8:9], v[32:33], v[12:13] op_sel_hi:[0,1,1]
	v_add_u32_e32 v1, 48, v42
	v_mov_b32_e32 v8, v41
	v_add_u32_e32 v12, 0x60, v42
	v_mad_u64_u32 v[10:11], s[0:1], s16, v1, 0
	v_mad_u64_u32 v[8:9], s[0:1], s17, v42, v[8:9]
	v_mov_b32_e32 v41, v8
	v_mad_u64_u32 v[8:9], s[0:1], s16, v12, 0
	v_lshl_add_u64 v[14:15], v[4:5], 3, v[6:7]
	v_mov_b32_e32 v4, v11
	v_add_u32_e32 v13, 0x90, v42
	v_mad_u64_u32 v[4:5], s[0:1], s17, v1, v[4:5]
	v_mov_b32_e32 v6, v9
	v_mad_u64_u32 v[6:7], s[0:1], s17, v12, v[6:7]
	v_mov_b32_e32 v11, v4
	;; [unrolled: 2-line block ×3, first 2 shown]
	v_mov_b32_e32 v6, v5
	v_mad_u64_u32 v[6:7], s[0:1], s17, v13, v[6:7]
	v_or_b32_e32 v1, 0xc0, v42
	v_mov_b32_e32 v5, v6
	v_mad_u64_u32 v[6:7], s[0:1], s16, v1, 0
	v_mov_b32_e32 v12, v7
	v_mad_u64_u32 v[12:13], s[0:1], s17, v1, v[12:13]
	v_add_u32_e32 v1, 0xf0, v42
	v_mov_b32_e32 v7, v12
	v_mad_u64_u32 v[12:13], s[0:1], s16, v1, 0
	v_mov_b32_e32 v16, v13
	v_mad_u64_u32 v[16:17], s[0:1], s17, v1, v[16:17]
	v_add_u32_e32 v1, 0x120, v42
	v_mad_u64_u32 v[60:61], s[0:1], s16, v1, 0
	v_mov_b32_e32 v13, v16
	v_mov_b32_e32 v16, v61
	v_mad_u64_u32 v[16:17], s[0:1], s17, v1, v[16:17]
	v_add_u32_e32 v1, 0x150, v42
	v_mad_u64_u32 v[62:63], s[0:1], s16, v1, 0
	v_mov_b32_e32 v61, v16
	v_mov_b32_e32 v16, v63
	v_mad_u64_u32 v[16:17], s[0:1], s17, v1, v[16:17]
	v_or_b32_e32 v1, 0x180, v42
	v_mad_u64_u32 v[64:65], s[0:1], s16, v1, 0
	v_mov_b32_e32 v63, v16
	v_mov_b32_e32 v16, v65
	v_mad_u64_u32 v[16:17], s[0:1], s17, v1, v[16:17]
	v_add_u32_e32 v1, 0x1b0, v42
	v_mad_u64_u32 v[66:67], s[0:1], s16, v1, 0
	v_mov_b32_e32 v65, v16
	v_mov_b32_e32 v16, v67
	v_mad_u64_u32 v[16:17], s[0:1], s17, v1, v[16:17]
	v_add_u32_e32 v1, 0x1e0, v42
	;; [unrolled: 5-line block ×3, first 2 shown]
	v_mov_b32_e32 v39, v27
	ds_read2_b32 v[26:27], v1 offset0:112 offset1:160
	v_mov_b32_e32 v55, v29
	v_mov_b32_e32 v1, v50
	;; [unrolled: 1-line block ×4, first 2 shown]
	s_waitcnt vmcnt(0) lgkmcnt(0)
	v_pk_mul_f32 v[28:29], v[26:27], v[18:19] op_sel:[0,1] op_sel_hi:[0,0]
	v_mov_b32_e32 v57, v31
	v_pk_fma_f32 v[30:31], v[2:3], v[18:19], v[28:29] neg_lo:[0,0,1] neg_hi:[0,0,1]
	v_pk_fma_f32 v[18:19], v[2:3], v[18:19], v[28:29] op_sel_hi:[0,1,1]
	v_pk_add_f32 v[32:33], v[0:1], v[46:47]
	v_mov_b32_e32 v31, v19
	v_mov_b32_e32 v2, v27
	;; [unrolled: 1-line block ×4, first 2 shown]
	v_pk_add_f32 v[32:33], v[32:33], v[24:25]
	v_pk_mul_f32 v[18:19], v[2:3], v[18:19] op_sel_hi:[0,1]
	v_mov_b32_e32 v2, v3
	v_mov_b32_e32 v26, v3
	v_pk_add_f32 v[32:33], v[32:33], v[38:39]
	v_pk_fma_f32 v[28:29], v[2:3], v[20:21], v[18:19] neg_lo:[0,0,1] neg_hi:[0,0,1]
	v_pk_fma_f32 v[2:3], v[26:27], v[20:21], v[18:19] op_sel_hi:[0,1,1]
	v_pk_add_f32 v[32:33], v[32:33], v[54:55]
	v_mov_b32_e32 v29, v3
	v_pk_add_f32 v[32:33], v[32:33], v[30:31]
	v_mov_b32_e32 v49, v35
	v_pk_add_f32 v[32:33], v[28:29], v[32:33]
	v_pk_add_f32 v[18:19], v[46:47], v[44:45] neg_lo:[0,1] neg_hi:[0,1]
	v_pk_add_f32 v[32:33], v[56:57], v[32:33]
	v_lshl_add_u64 v[40:41], v[40:41], 3, v[14:15]
	v_pk_add_f32 v[32:33], v[58:59], v[32:33]
	v_pk_add_f32 v[2:3], v[44:45], v[46:47]
	;; [unrolled: 1-line block ×3, first 2 shown]
	s_mov_b32 s0, 0x3f575c64
	v_pk_mul_f32 v[26:27], v[18:19], s[2:3] op_sel:[1,0] op_sel_hi:[0,0]
	v_pk_add_f32 v[20:21], v[48:49], v[24:25]
	v_pk_add_f32 v[24:25], v[24:25], v[48:49] neg_lo:[0,1] neg_hi:[0,1]
	v_pk_add_f32 v[32:33], v[44:45], v[32:33]
	v_pk_fma_f32 v[34:35], v[2:3], s[0:1], v[26:27] op_sel_hi:[1,0,1]
	v_pk_fma_f32 v[26:27], v[2:3], s[0:1], v[26:27] op_sel_hi:[1,0,1] neg_lo:[0,0,1] neg_hi:[0,0,1]
	s_mov_b32 s4, 0x3ed4b147
	global_store_dwordx2 v[40:41], v[32:33], off
	v_pk_mul_f32 v[32:33], v[24:25], s[18:19] op_sel:[1,0] op_sel_hi:[0,0]
	v_mov_b32_e32 v43, v16
	v_mov_b32_e32 v36, v34
	;; [unrolled: 1-line block ×3, first 2 shown]
	v_pk_fma_f32 v[40:41], v[20:21], s[4:5], v[32:33] op_sel_hi:[1,0,1]
	v_pk_fma_f32 v[32:33], v[20:21], s[4:5], v[32:33] op_sel_hi:[1,0,1] neg_lo:[0,0,1] neg_hi:[0,0,1]
	v_lshl_add_u64 v[68:69], v[10:11], 3, v[14:15]
	v_lshl_add_u64 v[70:71], v[8:9], 3, v[14:15]
	v_lshl_add_u64 v[22:23], v[4:5], 3, v[14:15]
	v_lshl_add_u64 v[16:17], v[6:7], 3, v[14:15]
	v_lshl_add_u64 v[4:5], v[12:13], 3, v[14:15]
	v_lshl_add_u64 v[6:7], v[60:61], 3, v[14:15]
	v_lshl_add_u64 v[8:9], v[62:63], 3, v[14:15]
	v_lshl_add_u64 v[10:11], v[64:65], 3, v[14:15]
	v_lshl_add_u64 v[12:13], v[66:67], 3, v[14:15]
	v_lshl_add_u64 v[14:15], v[42:43], 3, v[14:15]
	v_pk_add_f32 v[36:37], v[0:1], v[36:37]
	v_mov_b32_e32 v42, v40
	v_mov_b32_e32 v43, v33
	v_pk_add_f32 v[36:37], v[36:37], v[42:43]
	v_pk_add_f32 v[42:43], v[58:59], v[38:39]
	v_pk_add_f32 v[38:39], v[38:39], v[58:59] neg_lo:[0,1] neg_hi:[0,1]
	v_pk_add_f32 v[50:51], v[54:55], v[56:57] neg_lo:[0,1] neg_hi:[0,1]
	v_pk_mul_f32 v[44:45], v[38:39], s[8:9] op_sel:[1,0] op_sel_hi:[0,0]
	v_pk_fma_f32 v[46:47], v[42:43], s[6:7], v[44:45] op_sel_hi:[1,0,1]
	v_pk_fma_f32 v[44:45], v[42:43], s[6:7], v[44:45] op_sel_hi:[1,0,1] neg_lo:[0,0,1] neg_hi:[0,0,1]
	v_mov_b32_e32 v48, v46
	v_mov_b32_e32 v49, v45
	v_pk_add_f32 v[36:37], v[36:37], v[48:49]
	v_pk_add_f32 v[48:49], v[56:57], v[54:55]
	v_pk_mul_f32 v[52:53], v[50:51], s[12:13] op_sel:[1,0] op_sel_hi:[0,0]
	v_pk_fma_f32 v[54:55], v[48:49], s[10:11], v[52:53] op_sel_hi:[1,0,1]
	v_pk_fma_f32 v[52:53], v[48:49], s[10:11], v[52:53] op_sel_hi:[1,0,1] neg_lo:[0,0,1] neg_hi:[0,0,1]
	v_mov_b32_e32 v56, v54
	v_mov_b32_e32 v57, v53
	v_mov_b32_e32 v27, v35
	v_pk_add_f32 v[36:37], v[36:37], v[56:57]
	v_pk_add_f32 v[56:57], v[28:29], v[30:31]
	v_pk_add_f32 v[28:29], v[30:31], v[28:29] neg_lo:[0,1] neg_hi:[0,1]
	s_mov_b32 s16, 0xbe903f40
	v_mov_b32_e32 v33, v41
	v_pk_add_f32 v[26:27], v[0:1], v[26:27]
	v_pk_mul_f32 v[30:31], v[28:29], s[16:17] op_sel:[1,0] op_sel_hi:[0,0]
	v_pk_add_f32 v[26:27], v[26:27], v[32:33]
	v_mov_b32_e32 v45, v47
	v_pk_fma_f32 v[58:59], v[56:57], s[14:15], v[30:31] op_sel_hi:[1,0,1]
	v_pk_fma_f32 v[30:31], v[56:57], s[14:15], v[30:31] op_sel_hi:[1,0,1] neg_lo:[0,0,1] neg_hi:[0,0,1]
	v_pk_add_f32 v[26:27], v[26:27], v[44:45]
	v_mov_b32_e32 v53, v55
	v_mov_b32_e32 v61, v31
	v_pk_add_f32 v[26:27], v[26:27], v[52:53]
	v_mov_b32_e32 v31, v59
	v_pk_add_f32 v[26:27], v[26:27], v[30:31]
	global_store_dwordx2 v[68:69], v[26:27], off
	v_pk_mul_f32 v[26:27], v[18:19], s[18:19] op_sel:[1,0] op_sel_hi:[0,0]
	v_pk_fma_f32 v[30:31], v[2:3], s[4:5], v[26:27] op_sel_hi:[1,0,1]
	v_pk_fma_f32 v[26:27], v[2:3], s[4:5], v[26:27] op_sel_hi:[1,0,1] neg_lo:[0,0,1] neg_hi:[0,0,1]
	v_pk_mul_f32 v[34:35], v[24:25], s[12:13] op_sel:[1,0] op_sel_hi:[0,0]
	v_mov_b32_e32 v32, v30
	v_mov_b32_e32 v33, v27
	v_pk_fma_f32 v[40:41], v[20:21], s[10:11], v[34:35] op_sel_hi:[1,0,1]
	v_pk_fma_f32 v[34:35], v[20:21], s[10:11], v[34:35] op_sel_hi:[1,0,1] neg_lo:[0,0,1] neg_hi:[0,0,1]
	v_pk_add_f32 v[32:33], v[0:1], v[32:33]
	v_mov_b32_e32 v44, v40
	v_mov_b32_e32 v45, v35
	v_pk_add_f32 v[32:33], v[32:33], v[44:45]
	v_pk_mul_f32 v[44:45], v[38:39], s[20:21] op_sel:[1,0] op_sel_hi:[0,0]
	v_pk_fma_f32 v[46:47], v[42:43], s[14:15], v[44:45] op_sel_hi:[1,0,1]
	v_pk_fma_f32 v[44:45], v[42:43], s[14:15], v[44:45] op_sel_hi:[1,0,1] neg_lo:[0,0,1] neg_hi:[0,0,1]
	v_mov_b32_e32 v52, v46
	v_mov_b32_e32 v53, v45
	v_pk_add_f32 v[32:33], v[32:33], v[52:53]
	v_pk_mul_f32 v[52:53], v[50:51], s[22:23] op_sel:[1,0] op_sel_hi:[0,0]
	v_pk_fma_f32 v[54:55], v[48:49], s[6:7], v[52:53] op_sel_hi:[1,0,1]
	v_pk_fma_f32 v[52:53], v[48:49], s[6:7], v[52:53] op_sel_hi:[1,0,1] neg_lo:[0,0,1] neg_hi:[0,0,1]
	v_mov_b32_e32 v27, v31
	v_mov_b32_e32 v60, v58
	v_mov_b32_e32 v58, v54
	v_mov_b32_e32 v59, v53
	s_mov_b32 s18, 0x3f0a6770
	v_mov_b32_e32 v35, v41
	v_pk_add_f32 v[26:27], v[0:1], v[26:27]
	v_pk_add_f32 v[32:33], v[32:33], v[58:59]
	v_pk_mul_f32 v[58:59], v[28:29], s[18:19] op_sel:[1,0] op_sel_hi:[0,0]
	v_pk_add_f32 v[26:27], v[26:27], v[34:35]
	v_mov_b32_e32 v45, v47
	v_pk_add_f32 v[36:37], v[36:37], v[60:61]
	v_pk_fma_f32 v[60:61], v[56:57], s[0:1], v[58:59] op_sel_hi:[1,0,1]
	v_pk_fma_f32 v[58:59], v[56:57], s[0:1], v[58:59] op_sel_hi:[1,0,1] neg_lo:[0,0,1] neg_hi:[0,0,1]
	v_pk_add_f32 v[26:27], v[26:27], v[44:45]
	v_mov_b32_e32 v53, v55
	v_mov_b32_e32 v63, v59
	v_pk_add_f32 v[26:27], v[26:27], v[52:53]
	v_mov_b32_e32 v59, v61
	v_pk_add_f32 v[26:27], v[26:27], v[58:59]
	global_store_dwordx2 v[70:71], v[26:27], off
	v_pk_mul_f32 v[26:27], v[18:19], s[8:9] op_sel:[1,0] op_sel_hi:[0,0]
	v_pk_fma_f32 v[30:31], v[2:3], s[6:7], v[26:27] op_sel_hi:[1,0,1]
	v_pk_fma_f32 v[26:27], v[2:3], s[6:7], v[26:27] op_sel_hi:[1,0,1] neg_lo:[0,0,1] neg_hi:[0,0,1]
	v_pk_mul_f32 v[40:41], v[24:25], s[20:21] op_sel:[1,0] op_sel_hi:[0,0]
	v_mov_b32_e32 v34, v30
	v_mov_b32_e32 v35, v27
	v_pk_fma_f32 v[44:45], v[20:21], s[14:15], v[40:41] op_sel_hi:[1,0,1]
	v_pk_fma_f32 v[40:41], v[20:21], s[14:15], v[40:41] op_sel_hi:[1,0,1] neg_lo:[0,0,1] neg_hi:[0,0,1]
	v_pk_add_f32 v[34:35], v[0:1], v[34:35]
	v_mov_b32_e32 v46, v44
	v_mov_b32_e32 v47, v41
	s_mov_b32 s20, 0x3f68dda4
	v_pk_add_f32 v[34:35], v[34:35], v[46:47]
	v_pk_mul_f32 v[46:47], v[38:39], s[20:21] op_sel:[1,0] op_sel_hi:[0,0]
	v_pk_fma_f32 v[52:53], v[42:43], s[4:5], v[46:47] op_sel_hi:[1,0,1]
	v_pk_fma_f32 v[46:47], v[42:43], s[4:5], v[46:47] op_sel_hi:[1,0,1] neg_lo:[0,0,1] neg_hi:[0,0,1]
	v_mov_b32_e32 v54, v52
	v_mov_b32_e32 v55, v47
	v_pk_add_f32 v[34:35], v[34:35], v[54:55]
	v_pk_mul_f32 v[54:55], v[50:51], s[2:3] op_sel:[1,0] op_sel_hi:[0,0]
	v_pk_fma_f32 v[58:59], v[48:49], s[0:1], v[54:55] op_sel_hi:[1,0,1]
	v_pk_fma_f32 v[54:55], v[48:49], s[0:1], v[54:55] op_sel_hi:[1,0,1] neg_lo:[0,0,1] neg_hi:[0,0,1]
	v_mov_b32_e32 v27, v31
	v_mov_b32_e32 v62, v60
	v_mov_b32_e32 v60, v58
	v_mov_b32_e32 v61, v55
	v_mov_b32_e32 v41, v45
	v_pk_add_f32 v[26:27], v[0:1], v[26:27]
	v_pk_add_f32 v[34:35], v[34:35], v[60:61]
	v_pk_mul_f32 v[60:61], v[28:29], s[12:13] op_sel:[1,0] op_sel_hi:[0,0]
	v_pk_add_f32 v[26:27], v[26:27], v[40:41]
	v_mov_b32_e32 v47, v53
	v_pk_add_f32 v[32:33], v[32:33], v[62:63]
	v_pk_fma_f32 v[62:63], v[56:57], s[10:11], v[60:61] op_sel_hi:[1,0,1]
	v_pk_fma_f32 v[60:61], v[56:57], s[10:11], v[60:61] op_sel_hi:[1,0,1] neg_lo:[0,0,1] neg_hi:[0,0,1]
	v_pk_add_f32 v[26:27], v[26:27], v[46:47]
	v_mov_b32_e32 v55, v59
	v_mov_b32_e32 v65, v61
	v_pk_add_f32 v[26:27], v[26:27], v[54:55]
	v_mov_b32_e32 v61, v63
	v_pk_add_f32 v[26:27], v[26:27], v[60:61]
	global_store_dwordx2 v[22:23], v[26:27], off
	v_pk_mul_f32 v[22:23], v[18:19], s[12:13] op_sel:[1,0] op_sel_hi:[0,0]
	v_pk_mul_f32 v[26:27], v[24:25], s[22:23] op_sel:[1,0] op_sel_hi:[0,0]
	v_pk_fma_f32 v[30:31], v[2:3], s[10:11], v[22:23] op_sel_hi:[1,0,1]
	v_pk_fma_f32 v[22:23], v[2:3], s[10:11], v[22:23] op_sel_hi:[1,0,1] neg_lo:[0,0,1] neg_hi:[0,0,1]
	v_mov_b32_e32 v40, v30
	v_mov_b32_e32 v41, v23
	v_pk_fma_f32 v[44:45], v[20:21], s[6:7], v[26:27] op_sel_hi:[1,0,1]
	v_pk_fma_f32 v[26:27], v[20:21], s[6:7], v[26:27] op_sel_hi:[1,0,1] neg_lo:[0,0,1] neg_hi:[0,0,1]
	v_pk_add_f32 v[40:41], v[0:1], v[40:41]
	v_mov_b32_e32 v46, v44
	v_mov_b32_e32 v47, v27
	v_pk_add_f32 v[40:41], v[40:41], v[46:47]
	v_pk_mul_f32 v[46:47], v[38:39], s[2:3] op_sel:[1,0] op_sel_hi:[0,0]
	v_pk_fma_f32 v[52:53], v[42:43], s[0:1], v[46:47] op_sel_hi:[1,0,1]
	v_pk_fma_f32 v[46:47], v[42:43], s[0:1], v[46:47] op_sel_hi:[1,0,1] neg_lo:[0,0,1] neg_hi:[0,0,1]
	v_mov_b32_e32 v54, v52
	v_mov_b32_e32 v55, v47
	v_pk_add_f32 v[40:41], v[40:41], v[54:55]
	v_pk_mul_f32 v[54:55], v[50:51], s[16:17] op_sel:[1,0] op_sel_hi:[0,0]
	v_pk_fma_f32 v[58:59], v[48:49], s[14:15], v[54:55] op_sel_hi:[1,0,1]
	v_pk_fma_f32 v[54:55], v[48:49], s[14:15], v[54:55] op_sel_hi:[1,0,1] neg_lo:[0,0,1] neg_hi:[0,0,1]
	v_mov_b32_e32 v23, v31
	v_mov_b32_e32 v60, v58
	;; [unrolled: 1-line block ×4, first 2 shown]
	v_pk_add_f32 v[22:23], v[0:1], v[22:23]
	v_pk_add_f32 v[40:41], v[40:41], v[60:61]
	v_pk_mul_f32 v[60:61], v[28:29], s[20:21] op_sel:[1,0] op_sel_hi:[0,0]
	v_pk_add_f32 v[22:23], v[22:23], v[26:27]
	v_mov_b32_e32 v47, v53
	v_mov_b32_e32 v64, v62
	v_pk_fma_f32 v[62:63], v[56:57], s[4:5], v[60:61] op_sel_hi:[1,0,1]
	v_pk_fma_f32 v[60:61], v[56:57], s[4:5], v[60:61] op_sel_hi:[1,0,1] neg_lo:[0,0,1] neg_hi:[0,0,1]
	v_pk_add_f32 v[22:23], v[22:23], v[46:47]
	v_mov_b32_e32 v55, v59
	v_pk_add_f32 v[34:35], v[34:35], v[64:65]
	v_mov_b32_e32 v65, v61
	;; [unrolled: 2-line block ×3, first 2 shown]
	v_pk_add_f32 v[22:23], v[22:23], v[60:61]
	global_store_dwordx2 v[16:17], v[22:23], off
	v_pk_mul_f32 v[16:17], v[18:19], s[16:17] op_sel:[1,0] op_sel_hi:[0,0]
	v_pk_fma_f32 v[18:19], v[2:3], s[14:15], v[16:17] op_sel_hi:[1,0,1]
	v_pk_fma_f32 v[2:3], v[2:3], s[14:15], v[16:17] op_sel_hi:[1,0,1] neg_lo:[0,0,1] neg_hi:[0,0,1]
	v_pk_mul_f32 v[22:23], v[24:25], s[18:19] op_sel:[1,0] op_sel_hi:[0,0]
	v_mov_b32_e32 v16, v18
	v_mov_b32_e32 v17, v3
	v_pk_fma_f32 v[24:25], v[20:21], s[0:1], v[22:23] op_sel_hi:[1,0,1]
	v_pk_fma_f32 v[20:21], v[20:21], s[0:1], v[22:23] op_sel_hi:[1,0,1] neg_lo:[0,0,1] neg_hi:[0,0,1]
	v_pk_add_f32 v[16:17], v[0:1], v[16:17]
	v_mov_b32_e32 v22, v24
	v_mov_b32_e32 v23, v21
	v_pk_add_f32 v[16:17], v[16:17], v[22:23]
	v_pk_mul_f32 v[22:23], v[38:39], s[12:13] op_sel:[1,0] op_sel_hi:[0,0]
	v_pk_fma_f32 v[26:27], v[42:43], s[10:11], v[22:23] op_sel_hi:[1,0,1]
	v_pk_fma_f32 v[22:23], v[42:43], s[10:11], v[22:23] op_sel_hi:[1,0,1] neg_lo:[0,0,1] neg_hi:[0,0,1]
	v_mov_b32_e32 v30, v26
	v_mov_b32_e32 v31, v23
	v_pk_add_f32 v[16:17], v[16:17], v[30:31]
	v_pk_mul_f32 v[30:31], v[50:51], s[20:21] op_sel:[1,0] op_sel_hi:[0,0]
	v_mov_b32_e32 v3, v19
	v_pk_fma_f32 v[38:39], v[48:49], s[4:5], v[30:31] op_sel_hi:[1,0,1]
	v_pk_fma_f32 v[30:31], v[48:49], s[4:5], v[30:31] op_sel_hi:[1,0,1] neg_lo:[0,0,1] neg_hi:[0,0,1]
	v_pk_add_f32 v[0:1], v[0:1], v[2:3]
	v_mov_b32_e32 v21, v25
	v_mov_b32_e32 v42, v38
	;; [unrolled: 1-line block ×3, first 2 shown]
	v_pk_mul_f32 v[28:29], v[28:29], s[8:9] op_sel:[1,0] op_sel_hi:[0,0]
	v_pk_add_f32 v[0:1], v[0:1], v[20:21]
	v_mov_b32_e32 v23, v27
	v_pk_add_f32 v[16:17], v[16:17], v[42:43]
	v_pk_fma_f32 v[42:43], v[56:57], s[6:7], v[28:29] op_sel_hi:[1,0,1]
	v_pk_fma_f32 v[28:29], v[56:57], s[6:7], v[28:29] op_sel_hi:[1,0,1] neg_lo:[0,0,1] neg_hi:[0,0,1]
	v_pk_add_f32 v[0:1], v[0:1], v[22:23]
	v_mov_b32_e32 v31, v39
	v_mov_b32_e32 v45, v29
	v_pk_add_f32 v[0:1], v[0:1], v[30:31]
	v_mov_b32_e32 v29, v43
	v_mov_b32_e32 v64, v62
	v_mov_b32_e32 v44, v42
	v_pk_add_f32 v[0:1], v[0:1], v[28:29]
	v_pk_add_f32 v[40:41], v[40:41], v[64:65]
	;; [unrolled: 1-line block ×3, first 2 shown]
	global_store_dwordx2 v[4:5], v[0:1], off
	global_store_dwordx2 v[6:7], v[16:17], off
	;; [unrolled: 1-line block ×6, first 2 shown]
.LBB0_47:
	s_endpgm
	.section	.rodata,"a",@progbits
	.p2align	6, 0x0
	.amdhsa_kernel fft_rtc_fwd_len528_factors_4_4_3_11_wgs_48_tpt_48_halfLds_sp_op_CI_CI_sbrr_dirReg
		.amdhsa_group_segment_fixed_size 0
		.amdhsa_private_segment_fixed_size 0
		.amdhsa_kernarg_size 104
		.amdhsa_user_sgpr_count 2
		.amdhsa_user_sgpr_dispatch_ptr 0
		.amdhsa_user_sgpr_queue_ptr 0
		.amdhsa_user_sgpr_kernarg_segment_ptr 1
		.amdhsa_user_sgpr_dispatch_id 0
		.amdhsa_user_sgpr_kernarg_preload_length 0
		.amdhsa_user_sgpr_kernarg_preload_offset 0
		.amdhsa_user_sgpr_private_segment_size 0
		.amdhsa_uses_dynamic_stack 0
		.amdhsa_enable_private_segment 0
		.amdhsa_system_sgpr_workgroup_id_x 1
		.amdhsa_system_sgpr_workgroup_id_y 0
		.amdhsa_system_sgpr_workgroup_id_z 0
		.amdhsa_system_sgpr_workgroup_info 0
		.amdhsa_system_vgpr_workitem_id 0
		.amdhsa_next_free_vgpr 73
		.amdhsa_next_free_sgpr 32
		.amdhsa_accum_offset 76
		.amdhsa_reserve_vcc 1
		.amdhsa_float_round_mode_32 0
		.amdhsa_float_round_mode_16_64 0
		.amdhsa_float_denorm_mode_32 3
		.amdhsa_float_denorm_mode_16_64 3
		.amdhsa_dx10_clamp 1
		.amdhsa_ieee_mode 1
		.amdhsa_fp16_overflow 0
		.amdhsa_tg_split 0
		.amdhsa_exception_fp_ieee_invalid_op 0
		.amdhsa_exception_fp_denorm_src 0
		.amdhsa_exception_fp_ieee_div_zero 0
		.amdhsa_exception_fp_ieee_overflow 0
		.amdhsa_exception_fp_ieee_underflow 0
		.amdhsa_exception_fp_ieee_inexact 0
		.amdhsa_exception_int_div_zero 0
	.end_amdhsa_kernel
	.text
.Lfunc_end0:
	.size	fft_rtc_fwd_len528_factors_4_4_3_11_wgs_48_tpt_48_halfLds_sp_op_CI_CI_sbrr_dirReg, .Lfunc_end0-fft_rtc_fwd_len528_factors_4_4_3_11_wgs_48_tpt_48_halfLds_sp_op_CI_CI_sbrr_dirReg
                                        ; -- End function
	.section	.AMDGPU.csdata,"",@progbits
; Kernel info:
; codeLenInByte = 7540
; NumSgprs: 38
; NumVgprs: 73
; NumAgprs: 0
; TotalNumVgprs: 73
; ScratchSize: 0
; MemoryBound: 0
; FloatMode: 240
; IeeeMode: 1
; LDSByteSize: 0 bytes/workgroup (compile time only)
; SGPRBlocks: 4
; VGPRBlocks: 9
; NumSGPRsForWavesPerEU: 38
; NumVGPRsForWavesPerEU: 73
; AccumOffset: 76
; Occupancy: 6
; WaveLimiterHint : 1
; COMPUTE_PGM_RSRC2:SCRATCH_EN: 0
; COMPUTE_PGM_RSRC2:USER_SGPR: 2
; COMPUTE_PGM_RSRC2:TRAP_HANDLER: 0
; COMPUTE_PGM_RSRC2:TGID_X_EN: 1
; COMPUTE_PGM_RSRC2:TGID_Y_EN: 0
; COMPUTE_PGM_RSRC2:TGID_Z_EN: 0
; COMPUTE_PGM_RSRC2:TIDIG_COMP_CNT: 0
; COMPUTE_PGM_RSRC3_GFX90A:ACCUM_OFFSET: 18
; COMPUTE_PGM_RSRC3_GFX90A:TG_SPLIT: 0
	.text
	.p2alignl 6, 3212836864
	.fill 256, 4, 3212836864
	.type	__hip_cuid_f8452532bdfab928,@object ; @__hip_cuid_f8452532bdfab928
	.section	.bss,"aw",@nobits
	.globl	__hip_cuid_f8452532bdfab928
__hip_cuid_f8452532bdfab928:
	.byte	0                               ; 0x0
	.size	__hip_cuid_f8452532bdfab928, 1

	.ident	"AMD clang version 19.0.0git (https://github.com/RadeonOpenCompute/llvm-project roc-6.4.0 25133 c7fe45cf4b819c5991fe208aaa96edf142730f1d)"
	.section	".note.GNU-stack","",@progbits
	.addrsig
	.addrsig_sym __hip_cuid_f8452532bdfab928
	.amdgpu_metadata
---
amdhsa.kernels:
  - .agpr_count:     0
    .args:
      - .actual_access:  read_only
        .address_space:  global
        .offset:         0
        .size:           8
        .value_kind:     global_buffer
      - .offset:         8
        .size:           8
        .value_kind:     by_value
      - .actual_access:  read_only
        .address_space:  global
        .offset:         16
        .size:           8
        .value_kind:     global_buffer
      - .actual_access:  read_only
        .address_space:  global
        .offset:         24
        .size:           8
        .value_kind:     global_buffer
      - .actual_access:  read_only
        .address_space:  global
        .offset:         32
        .size:           8
        .value_kind:     global_buffer
      - .offset:         40
        .size:           8
        .value_kind:     by_value
      - .actual_access:  read_only
        .address_space:  global
        .offset:         48
        .size:           8
        .value_kind:     global_buffer
      - .actual_access:  read_only
        .address_space:  global
        .offset:         56
        .size:           8
        .value_kind:     global_buffer
      - .offset:         64
        .size:           4
        .value_kind:     by_value
      - .actual_access:  read_only
        .address_space:  global
        .offset:         72
        .size:           8
        .value_kind:     global_buffer
      - .actual_access:  read_only
        .address_space:  global
        .offset:         80
        .size:           8
        .value_kind:     global_buffer
      - .actual_access:  read_only
        .address_space:  global
        .offset:         88
        .size:           8
        .value_kind:     global_buffer
      - .actual_access:  write_only
        .address_space:  global
        .offset:         96
        .size:           8
        .value_kind:     global_buffer
    .group_segment_fixed_size: 0
    .kernarg_segment_align: 8
    .kernarg_segment_size: 104
    .language:       OpenCL C
    .language_version:
      - 2
      - 0
    .max_flat_workgroup_size: 48
    .name:           fft_rtc_fwd_len528_factors_4_4_3_11_wgs_48_tpt_48_halfLds_sp_op_CI_CI_sbrr_dirReg
    .private_segment_fixed_size: 0
    .sgpr_count:     38
    .sgpr_spill_count: 0
    .symbol:         fft_rtc_fwd_len528_factors_4_4_3_11_wgs_48_tpt_48_halfLds_sp_op_CI_CI_sbrr_dirReg.kd
    .uniform_work_group_size: 1
    .uses_dynamic_stack: false
    .vgpr_count:     73
    .vgpr_spill_count: 0
    .wavefront_size: 64
amdhsa.target:   amdgcn-amd-amdhsa--gfx950
amdhsa.version:
  - 1
  - 2
...

	.end_amdgpu_metadata
